;; amdgpu-corpus repo=ROCm/rocFFT kind=compiled arch=gfx1030 opt=O3
	.text
	.amdgcn_target "amdgcn-amd-amdhsa--gfx1030"
	.amdhsa_code_object_version 6
	.protected	fft_rtc_fwd_len1300_factors_10_10_13_wgs_130_tpt_130_dp_op_CI_CI_sbrr_dirReg ; -- Begin function fft_rtc_fwd_len1300_factors_10_10_13_wgs_130_tpt_130_dp_op_CI_CI_sbrr_dirReg
	.globl	fft_rtc_fwd_len1300_factors_10_10_13_wgs_130_tpt_130_dp_op_CI_CI_sbrr_dirReg
	.p2align	8
	.type	fft_rtc_fwd_len1300_factors_10_10_13_wgs_130_tpt_130_dp_op_CI_CI_sbrr_dirReg,@function
fft_rtc_fwd_len1300_factors_10_10_13_wgs_130_tpt_130_dp_op_CI_CI_sbrr_dirReg: ; @fft_rtc_fwd_len1300_factors_10_10_13_wgs_130_tpt_130_dp_op_CI_CI_sbrr_dirReg
; %bb.0:
	s_clause 0x2
	s_load_dwordx4 s[16:19], s[4:5], 0x18
	s_load_dwordx4 s[12:15], s[4:5], 0x0
	;; [unrolled: 1-line block ×3, first 2 shown]
	v_mul_u32_u24_e32 v2, 0x1f9, v0
	v_mov_b32_e32 v1, 0
	v_mov_b32_e32 v4, 0
	;; [unrolled: 1-line block ×3, first 2 shown]
	s_waitcnt lgkmcnt(0)
	s_load_dwordx2 s[20:21], s[16:17], 0x0
	s_load_dwordx2 s[2:3], s[18:19], 0x0
	v_cmp_lt_u64_e64 s0, s[14:15], 2
	v_add_nc_u32_sdwa v6, s6, v2 dst_sel:DWORD dst_unused:UNUSED_PAD src0_sel:DWORD src1_sel:WORD_1
	v_mov_b32_e32 v7, v1
	s_and_b32 vcc_lo, exec_lo, s0
	s_cbranch_vccnz .LBB0_8
; %bb.1:
	s_load_dwordx2 s[0:1], s[4:5], 0x10
	v_mov_b32_e32 v4, 0
	v_mov_b32_e32 v5, 0
	s_add_u32 s6, s18, 8
	s_addc_u32 s7, s19, 0
	s_add_u32 s22, s16, 8
	s_addc_u32 s23, s17, 0
	v_mov_b32_e32 v53, v5
	v_mov_b32_e32 v52, v4
	s_mov_b64 s[26:27], 1
	s_waitcnt lgkmcnt(0)
	s_add_u32 s24, s0, 8
	s_addc_u32 s25, s1, 0
.LBB0_2:                                ; =>This Inner Loop Header: Depth=1
	s_load_dwordx2 s[28:29], s[24:25], 0x0
                                        ; implicit-def: $vgpr54_vgpr55
	s_mov_b32 s0, exec_lo
	s_waitcnt lgkmcnt(0)
	v_or_b32_e32 v2, s29, v7
	v_cmpx_ne_u64_e32 0, v[1:2]
	s_xor_b32 s1, exec_lo, s0
	s_cbranch_execz .LBB0_4
; %bb.3:                                ;   in Loop: Header=BB0_2 Depth=1
	v_cvt_f32_u32_e32 v2, s28
	v_cvt_f32_u32_e32 v3, s29
	s_sub_u32 s0, 0, s28
	s_subb_u32 s30, 0, s29
	v_fmac_f32_e32 v2, 0x4f800000, v3
	v_rcp_f32_e32 v2, v2
	v_mul_f32_e32 v2, 0x5f7ffffc, v2
	v_mul_f32_e32 v3, 0x2f800000, v2
	v_trunc_f32_e32 v3, v3
	v_fmac_f32_e32 v2, 0xcf800000, v3
	v_cvt_u32_f32_e32 v3, v3
	v_cvt_u32_f32_e32 v2, v2
	v_mul_lo_u32 v8, s0, v3
	v_mul_hi_u32 v9, s0, v2
	v_mul_lo_u32 v10, s30, v2
	v_add_nc_u32_e32 v8, v9, v8
	v_mul_lo_u32 v9, s0, v2
	v_add_nc_u32_e32 v8, v8, v10
	v_mul_hi_u32 v10, v2, v9
	v_mul_lo_u32 v11, v2, v8
	v_mul_hi_u32 v12, v2, v8
	v_mul_hi_u32 v13, v3, v9
	v_mul_lo_u32 v9, v3, v9
	v_mul_hi_u32 v14, v3, v8
	v_mul_lo_u32 v8, v3, v8
	v_add_co_u32 v10, vcc_lo, v10, v11
	v_add_co_ci_u32_e32 v11, vcc_lo, 0, v12, vcc_lo
	v_add_co_u32 v9, vcc_lo, v10, v9
	v_add_co_ci_u32_e32 v9, vcc_lo, v11, v13, vcc_lo
	v_add_co_ci_u32_e32 v10, vcc_lo, 0, v14, vcc_lo
	v_add_co_u32 v8, vcc_lo, v9, v8
	v_add_co_ci_u32_e32 v9, vcc_lo, 0, v10, vcc_lo
	v_add_co_u32 v2, vcc_lo, v2, v8
	v_add_co_ci_u32_e32 v3, vcc_lo, v3, v9, vcc_lo
	v_mul_hi_u32 v8, s0, v2
	v_mul_lo_u32 v10, s30, v2
	v_mul_lo_u32 v9, s0, v3
	v_add_nc_u32_e32 v8, v8, v9
	v_mul_lo_u32 v9, s0, v2
	v_add_nc_u32_e32 v8, v8, v10
	v_mul_hi_u32 v10, v2, v9
	v_mul_lo_u32 v11, v2, v8
	v_mul_hi_u32 v12, v2, v8
	v_mul_hi_u32 v13, v3, v9
	v_mul_lo_u32 v9, v3, v9
	v_mul_hi_u32 v14, v3, v8
	v_mul_lo_u32 v8, v3, v8
	v_add_co_u32 v10, vcc_lo, v10, v11
	v_add_co_ci_u32_e32 v11, vcc_lo, 0, v12, vcc_lo
	v_add_co_u32 v9, vcc_lo, v10, v9
	v_add_co_ci_u32_e32 v9, vcc_lo, v11, v13, vcc_lo
	v_add_co_ci_u32_e32 v10, vcc_lo, 0, v14, vcc_lo
	v_add_co_u32 v8, vcc_lo, v9, v8
	v_add_co_ci_u32_e32 v9, vcc_lo, 0, v10, vcc_lo
	v_add_co_u32 v8, vcc_lo, v2, v8
	v_add_co_ci_u32_e32 v10, vcc_lo, v3, v9, vcc_lo
	v_mul_hi_u32 v12, v6, v8
	v_mad_u64_u32 v[8:9], null, v7, v8, 0
	v_mad_u64_u32 v[2:3], null, v6, v10, 0
	v_mad_u64_u32 v[10:11], null, v7, v10, 0
	v_add_co_u32 v2, vcc_lo, v12, v2
	v_add_co_ci_u32_e32 v3, vcc_lo, 0, v3, vcc_lo
	v_add_co_u32 v2, vcc_lo, v2, v8
	v_add_co_ci_u32_e32 v2, vcc_lo, v3, v9, vcc_lo
	v_add_co_ci_u32_e32 v3, vcc_lo, 0, v11, vcc_lo
	v_add_co_u32 v8, vcc_lo, v2, v10
	v_add_co_ci_u32_e32 v9, vcc_lo, 0, v3, vcc_lo
	v_mul_lo_u32 v10, s29, v8
	v_mad_u64_u32 v[2:3], null, s28, v8, 0
	v_mul_lo_u32 v11, s28, v9
	v_sub_co_u32 v2, vcc_lo, v6, v2
	v_add3_u32 v3, v3, v11, v10
	v_sub_nc_u32_e32 v10, v7, v3
	v_subrev_co_ci_u32_e64 v10, s0, s29, v10, vcc_lo
	v_add_co_u32 v11, s0, v8, 2
	v_add_co_ci_u32_e64 v12, s0, 0, v9, s0
	v_sub_co_u32 v13, s0, v2, s28
	v_sub_co_ci_u32_e32 v3, vcc_lo, v7, v3, vcc_lo
	v_subrev_co_ci_u32_e64 v10, s0, 0, v10, s0
	v_cmp_le_u32_e32 vcc_lo, s28, v13
	v_cmp_eq_u32_e64 s0, s29, v3
	v_cndmask_b32_e64 v13, 0, -1, vcc_lo
	v_cmp_le_u32_e32 vcc_lo, s29, v10
	v_cndmask_b32_e64 v14, 0, -1, vcc_lo
	v_cmp_le_u32_e32 vcc_lo, s28, v2
	;; [unrolled: 2-line block ×3, first 2 shown]
	v_cndmask_b32_e64 v15, 0, -1, vcc_lo
	v_cmp_eq_u32_e32 vcc_lo, s29, v10
	v_cndmask_b32_e64 v2, v15, v2, s0
	v_cndmask_b32_e32 v10, v14, v13, vcc_lo
	v_add_co_u32 v13, vcc_lo, v8, 1
	v_add_co_ci_u32_e32 v14, vcc_lo, 0, v9, vcc_lo
	v_cmp_ne_u32_e32 vcc_lo, 0, v10
	v_cndmask_b32_e32 v3, v14, v12, vcc_lo
	v_cndmask_b32_e32 v10, v13, v11, vcc_lo
	v_cmp_ne_u32_e32 vcc_lo, 0, v2
	v_cndmask_b32_e32 v55, v9, v3, vcc_lo
	v_cndmask_b32_e32 v54, v8, v10, vcc_lo
.LBB0_4:                                ;   in Loop: Header=BB0_2 Depth=1
	s_andn2_saveexec_b32 s0, s1
	s_cbranch_execz .LBB0_6
; %bb.5:                                ;   in Loop: Header=BB0_2 Depth=1
	v_cvt_f32_u32_e32 v2, s28
	s_sub_i32 s1, 0, s28
	v_mov_b32_e32 v55, v1
	v_rcp_iflag_f32_e32 v2, v2
	v_mul_f32_e32 v2, 0x4f7ffffe, v2
	v_cvt_u32_f32_e32 v2, v2
	v_mul_lo_u32 v3, s1, v2
	v_mul_hi_u32 v3, v2, v3
	v_add_nc_u32_e32 v2, v2, v3
	v_mul_hi_u32 v2, v6, v2
	v_mul_lo_u32 v3, v2, s28
	v_add_nc_u32_e32 v8, 1, v2
	v_sub_nc_u32_e32 v3, v6, v3
	v_subrev_nc_u32_e32 v9, s28, v3
	v_cmp_le_u32_e32 vcc_lo, s28, v3
	v_cndmask_b32_e32 v3, v3, v9, vcc_lo
	v_cndmask_b32_e32 v2, v2, v8, vcc_lo
	v_cmp_le_u32_e32 vcc_lo, s28, v3
	v_add_nc_u32_e32 v8, 1, v2
	v_cndmask_b32_e32 v54, v2, v8, vcc_lo
.LBB0_6:                                ;   in Loop: Header=BB0_2 Depth=1
	s_or_b32 exec_lo, exec_lo, s0
	v_mul_lo_u32 v8, v55, s28
	v_mul_lo_u32 v9, v54, s29
	s_load_dwordx2 s[0:1], s[22:23], 0x0
	v_mad_u64_u32 v[2:3], null, v54, s28, 0
	s_load_dwordx2 s[28:29], s[6:7], 0x0
	s_add_u32 s26, s26, 1
	s_addc_u32 s27, s27, 0
	s_add_u32 s6, s6, 8
	s_addc_u32 s7, s7, 0
	s_add_u32 s22, s22, 8
	v_add3_u32 v3, v3, v9, v8
	v_sub_co_u32 v2, vcc_lo, v6, v2
	s_addc_u32 s23, s23, 0
	s_add_u32 s24, s24, 8
	v_sub_co_ci_u32_e32 v3, vcc_lo, v7, v3, vcc_lo
	s_addc_u32 s25, s25, 0
	s_waitcnt lgkmcnt(0)
	v_mul_lo_u32 v6, s0, v3
	v_mul_lo_u32 v7, s1, v2
	v_mad_u64_u32 v[4:5], null, s0, v2, v[4:5]
	v_mul_lo_u32 v3, s28, v3
	v_mul_lo_u32 v8, s29, v2
	v_mad_u64_u32 v[52:53], null, s28, v2, v[52:53]
	v_cmp_ge_u64_e64 s0, s[26:27], s[14:15]
	v_add3_u32 v5, v7, v5, v6
	v_add3_u32 v53, v8, v53, v3
	s_and_b32 vcc_lo, exec_lo, s0
	s_cbranch_vccnz .LBB0_9
; %bb.7:                                ;   in Loop: Header=BB0_2 Depth=1
	v_mov_b32_e32 v6, v54
	v_mov_b32_e32 v7, v55
	s_branch .LBB0_2
.LBB0_8:
	v_mov_b32_e32 v53, v5
	v_mov_b32_e32 v55, v7
	;; [unrolled: 1-line block ×4, first 2 shown]
.LBB0_9:
	s_load_dwordx2 s[0:1], s[4:5], 0x28
	v_mul_hi_u32 v1, 0x1f81f82, v0
	s_lshl_b64 s[6:7], s[14:15], 3
                                        ; implicit-def: $vgpr72
	s_add_u32 s4, s18, s6
	s_addc_u32 s5, s19, s7
	s_waitcnt lgkmcnt(0)
	v_cmp_gt_u64_e32 vcc_lo, s[0:1], v[54:55]
	v_cmp_le_u64_e64 s0, s[0:1], v[54:55]
	s_and_saveexec_b32 s1, s0
	s_xor_b32 s0, exec_lo, s1
; %bb.10:
	v_mul_u32_u24_e32 v1, 0x82, v1
                                        ; implicit-def: $vgpr4_vgpr5
	v_sub_nc_u32_e32 v72, v0, v1
                                        ; implicit-def: $vgpr1
                                        ; implicit-def: $vgpr0
; %bb.11:
	s_or_saveexec_b32 s1, s0
                                        ; implicit-def: $vgpr14_vgpr15
                                        ; implicit-def: $vgpr10_vgpr11
                                        ; implicit-def: $vgpr18_vgpr19
                                        ; implicit-def: $vgpr30_vgpr31
                                        ; implicit-def: $vgpr26_vgpr27
                                        ; implicit-def: $vgpr38_vgpr39
                                        ; implicit-def: $vgpr22_vgpr23
                                        ; implicit-def: $vgpr34_vgpr35
                                        ; implicit-def: $vgpr6_vgpr7
                                        ; implicit-def: $vgpr2_vgpr3
	s_xor_b32 exec_lo, exec_lo, s1
	s_cbranch_execz .LBB0_13
; %bb.12:
	s_add_u32 s6, s16, s6
	s_addc_u32 s7, s17, s7
	v_mul_u32_u24_e32 v1, 0x82, v1
	s_load_dwordx2 s[6:7], s[6:7], 0x0
	v_lshlrev_b64 v[4:5], 4, v[4:5]
	v_sub_nc_u32_e32 v72, v0, v1
	v_add_nc_u32_e32 v14, 0x82, v72
	v_add_nc_u32_e32 v15, 0x104, v72
	v_mad_u64_u32 v[0:1], null, s20, v72, 0
	v_add_nc_u32_e32 v16, 0x186, v72
	v_mad_u64_u32 v[2:3], null, s20, v14, 0
	v_mad_u64_u32 v[6:7], null, s20, v15, 0
	;; [unrolled: 1-line block ×3, first 2 shown]
	s_waitcnt lgkmcnt(0)
	v_mul_lo_u32 v17, s7, v54
	v_mul_lo_u32 v18, s6, v55
	v_mad_u64_u32 v[10:11], null, s6, v54, 0
	v_mad_u64_u32 v[12:13], null, s21, v72, v[1:2]
	v_mov_b32_e32 v1, v3
	v_mov_b32_e32 v3, v7
	;; [unrolled: 1-line block ×3, first 2 shown]
	v_add_nc_u32_e32 v19, 0x208, v72
	v_add3_u32 v11, v11, v18, v17
	v_mad_u64_u32 v[13:14], null, s21, v14, v[1:2]
	v_mad_u64_u32 v[14:15], null, s21, v15, v[3:4]
	v_lshlrev_b64 v[9:10], 4, v[10:11]
	v_mov_b32_e32 v1, v12
	v_mad_u64_u32 v[11:12], null, s21, v16, v[7:8]
	v_mov_b32_e32 v3, v13
	v_add_nc_u32_e32 v20, 0x28a, v72
	v_add_co_u32 v9, s0, s8, v9
	v_add_co_ci_u32_e64 v10, s0, s9, v10, s0
	v_lshlrev_b64 v[0:1], 4, v[0:1]
	v_mov_b32_e32 v7, v14
	v_add_co_u32 v29, s0, v9, v4
	v_add_co_ci_u32_e64 v30, s0, v10, v5, s0
	v_lshlrev_b64 v[2:3], 4, v[2:3]
	v_mad_u64_u32 v[14:15], null, s20, v19, 0
	v_add_co_u32 v0, s0, v29, v0
	v_lshlrev_b64 v[12:13], 4, v[6:7]
	v_add_co_ci_u32_e64 v1, s0, v30, v1, s0
	v_add_co_u32 v4, s0, v29, v2
	v_add_co_ci_u32_e64 v5, s0, v30, v3, s0
	v_add_co_u32 v10, s0, v29, v12
	v_mov_b32_e32 v12, v15
	v_mov_b32_e32 v9, v11
	v_mad_u64_u32 v[16:17], null, s20, v20, 0
	v_add_co_ci_u32_e64 v11, s0, v30, v13, s0
	v_mad_u64_u32 v[12:13], null, s21, v19, v[12:13]
	v_lshlrev_b64 v[8:9], 4, v[8:9]
	v_add_nc_u32_e32 v26, 0x30c, v72
	v_mov_b32_e32 v13, v17
	v_add_nc_u32_e32 v27, 0x38e, v72
	s_clause 0x1
	global_load_dwordx4 v[0:3], v[0:1], off
	global_load_dwordx4 v[4:7], v[4:5], off
	v_add_nc_u32_e32 v31, 0x492, v72
	v_mad_u64_u32 v[18:19], null, s20, v26, 0
	v_add_co_u32 v8, s0, v29, v8
	v_mov_b32_e32 v15, v12
	v_add_co_ci_u32_e64 v9, s0, v30, v9, s0
	v_mad_u64_u32 v[24:25], null, s21, v20, v[13:14]
	v_mad_u64_u32 v[12:13], null, s20, v27, 0
	s_clause 0x1
	global_load_dwordx4 v[32:35], v[10:11], off
	global_load_dwordx4 v[20:23], v[8:9], off
	v_lshlrev_b64 v[9:10], 4, v[14:15]
	v_mov_b32_e32 v8, v19
	v_add_nc_u32_e32 v11, 0x410, v72
	v_mov_b32_e32 v17, v24
	v_mad_u64_u32 v[14:15], null, s21, v26, v[8:9]
	v_mov_b32_e32 v8, v13
	v_mad_u64_u32 v[24:25], null, s20, v11, 0
	v_lshlrev_b64 v[15:16], 4, v[16:17]
	v_mad_u64_u32 v[26:27], null, s21, v27, v[8:9]
	v_mad_u64_u32 v[27:28], null, s20, v31, 0
	v_add_co_u32 v8, s0, v29, v9
	v_add_co_ci_u32_e64 v9, s0, v30, v10, s0
	v_mov_b32_e32 v10, v25
	v_mov_b32_e32 v19, v14
	v_add_co_u32 v14, s0, v29, v15
	v_mov_b32_e32 v13, v26
	v_mad_u64_u32 v[10:11], null, s21, v11, v[10:11]
	v_mov_b32_e32 v11, v28
	v_add_co_ci_u32_e64 v15, s0, v30, v16, s0
	v_lshlrev_b64 v[16:17], 4, v[18:19]
	v_mad_u64_u32 v[18:19], null, s21, v31, v[11:12]
	v_lshlrev_b64 v[11:12], 4, v[12:13]
	v_mov_b32_e32 v25, v10
	v_add_co_u32 v16, s0, v29, v16
	v_add_co_ci_u32_e64 v17, s0, v30, v17, s0
	v_mov_b32_e32 v28, v18
	v_lshlrev_b64 v[24:25], 4, v[24:25]
	v_add_co_u32 v10, s0, v29, v11
	v_add_co_ci_u32_e64 v11, s0, v30, v12, s0
	v_lshlrev_b64 v[12:13], 4, v[27:28]
	v_add_co_u32 v40, s0, v29, v24
	v_add_co_ci_u32_e64 v41, s0, v30, v25, s0
	v_add_co_u32 v12, s0, v29, v12
	v_add_co_ci_u32_e64 v13, s0, v30, v13, s0
	s_clause 0x5
	global_load_dwordx4 v[36:39], v[8:9], off
	global_load_dwordx4 v[24:27], v[14:15], off
	;; [unrolled: 1-line block ×6, first 2 shown]
.LBB0_13:
	s_or_b32 exec_lo, exec_lo, s1
	s_waitcnt vmcnt(2)
	v_add_f64 v[40:41], v[16:17], v[24:25]
	s_waitcnt vmcnt(0)
	v_add_f64 v[46:47], v[12:13], v[20:21]
	v_add_f64 v[58:59], v[14:15], v[22:23]
	;; [unrolled: 1-line block ×5, first 2 shown]
	v_add_f64 v[83:84], v[22:23], -v[14:15]
	v_add_f64 v[87:88], v[26:27], -v[18:19]
	;; [unrolled: 1-line block ×3, first 2 shown]
	v_add_f64 v[89:90], v[22:23], v[6:7]
	v_add_f64 v[95:96], v[20:21], -v[12:13]
	s_mov_b32 s6, 0x134454ff
	s_mov_b32 s7, 0x3fee6f0e
	;; [unrolled: 1-line block ×4, first 2 shown]
	v_add_f64 v[48:49], v[28:29], v[36:37]
	v_add_f64 v[50:51], v[8:9], v[32:33]
	;; [unrolled: 1-line block ×4, first 2 shown]
	v_add_f64 v[62:63], v[34:35], -v[10:11]
	v_add_f64 v[66:67], v[32:33], -v[36:37]
	;; [unrolled: 1-line block ×3, first 2 shown]
	v_fma_f64 v[40:41], v[40:41], -0.5, v[4:5]
	v_fma_f64 v[46:47], v[46:47], -0.5, v[4:5]
	;; [unrolled: 1-line block ×4, first 2 shown]
	v_add_f64 v[70:71], v[34:35], -v[38:39]
	v_add_f64 v[34:35], v[38:39], -v[34:35]
	;; [unrolled: 1-line block ×4, first 2 shown]
	v_add_f64 v[4:5], v[20:21], v[4:5]
	v_add_f64 v[93:94], v[20:21], -v[24:25]
	v_add_f64 v[64:65], v[12:13], -v[16:17]
	;; [unrolled: 1-line block ×4, first 2 shown]
	v_add_f64 v[36:37], v[36:37], v[42:43]
	v_add_f64 v[38:39], v[38:39], v[44:45]
	v_add_f64 v[99:100], v[22:23], -v[26:27]
	v_add_f64 v[22:23], v[26:27], -v[22:23]
	v_add_f64 v[103:104], v[18:19], -v[14:15]
	v_add_f64 v[77:78], v[8:9], -v[28:29]
	v_add_f64 v[44:45], v[14:15], -v[18:19]
	s_mov_b32 s8, 0x4755a5e
	s_mov_b32 s9, 0x3fe2cf23
	v_fma_f64 v[42:43], v[83:84], s[6:7], v[40:41]
	v_fma_f64 v[40:41], v[83:84], s[0:1], v[40:41]
	;; [unrolled: 1-line block ×6, first 2 shown]
	s_mov_b32 s15, 0xbfe2cf23
	s_mov_b32 s14, s8
	v_add_f64 v[32:33], v[32:33], -v[8:9]
	v_add_f64 v[79:80], v[28:29], -v[8:9]
	;; [unrolled: 1-line block ×4, first 2 shown]
	v_fma_f64 v[48:49], v[48:49], -0.5, v[0:1]
	v_fma_f64 v[0:1], v[50:51], -0.5, v[0:1]
	;; [unrolled: 1-line block ×4, first 2 shown]
	v_add_f64 v[60:61], v[64:65], v[93:94]
	v_add_f64 v[20:21], v[97:98], v[20:21]
	;; [unrolled: 1-line block ×3, first 2 shown]
	v_fma_f64 v[6:7], v[95:96], s[0:1], v[6:7]
	v_add_f64 v[30:31], v[30:31], v[38:39]
	v_fma_f64 v[38:39], v[91:92], s[6:7], v[58:59]
	v_fma_f64 v[36:37], v[87:88], s[8:9], v[42:43]
	;; [unrolled: 1-line block ×5, first 2 shown]
	v_add_f64 v[22:23], v[103:104], v[22:23]
	v_fma_f64 v[64:65], v[95:96], s[8:9], v[105:106]
	v_add_f64 v[56:57], v[77:78], v[66:67]
	v_add_f64 v[44:45], v[44:45], v[99:100]
	v_fma_f64 v[66:67], v[91:92], s[8:9], v[107:108]
	s_mov_b32 s16, 0x372fe950
	v_add_f64 v[4:5], v[24:25], v[4:5]
	v_add_f64 v[24:25], v[26:27], v[89:90]
	s_mov_b32 s17, 0x3fd3c6ef
	v_fma_f64 v[58:59], v[62:63], s[6:7], v[48:49]
	v_fma_f64 v[77:78], v[73:74], s[0:1], v[0:1]
	;; [unrolled: 1-line block ×4, first 2 shown]
	v_add_f64 v[68:69], v[79:80], v[68:69]
	v_fma_f64 v[79:80], v[75:76], s[6:7], v[2:3]
	v_fma_f64 v[2:3], v[75:76], s[0:1], v[2:3]
	;; [unrolled: 1-line block ×11, first 2 shown]
	s_mov_b32 s18, 0x9b97f4a8
	v_fma_f64 v[64:65], v[44:45], s[16:17], v[66:67]
	s_mov_b32 s19, 0x3fe9e377
	v_add_f64 v[4:5], v[16:17], v[4:5]
	v_add_f64 v[16:17], v[18:19], v[24:25]
	v_add_f64 v[46:47], v[81:82], v[70:71]
	v_fma_f64 v[58:59], v[73:74], s[8:9], v[58:59]
	v_fma_f64 v[66:67], v[62:63], s[8:9], v[77:78]
	;; [unrolled: 1-line block ×4, first 2 shown]
	v_add_f64 v[26:27], v[85:86], v[34:35]
	v_fma_f64 v[34:35], v[32:33], s[14:15], v[79:80]
	v_fma_f64 v[2:3], v[32:33], s[8:9], v[2:3]
	;; [unrolled: 1-line block ×4, first 2 shown]
	v_mul_f64 v[32:33], v[36:37], s[18:19]
	v_mul_f64 v[50:51], v[40:41], s[18:19]
	v_mul_f64 v[38:39], v[42:43], s[16:17]
	v_mul_f64 v[44:45], v[20:21], s[16:17]
	v_mul_f64 v[36:37], v[36:37], s[14:15]
	v_mul_f64 v[42:43], v[42:43], s[0:1]
	v_fma_f64 v[48:49], v[73:74], s[14:15], v[48:49]
	v_fma_f64 v[0:1], v[62:63], s[14:15], v[0:1]
	v_mul_f64 v[62:63], v[60:61], s[16:17]
	v_mul_f64 v[70:71], v[64:65], s[18:19]
	v_add_f64 v[8:9], v[8:9], v[28:29]
	v_add_f64 v[10:11], v[10:11], v[30:31]
	;; [unrolled: 1-line block ×4, first 2 shown]
	v_fma_f64 v[28:29], v[56:57], s[16:17], v[58:59]
	v_fma_f64 v[30:31], v[68:69], s[16:17], v[66:67]
	v_fma_f64 v[58:59], v[46:47], s[16:17], v[18:19]
	v_fma_f64 v[46:47], v[46:47], s[16:17], v[24:25]
	v_fma_f64 v[66:67], v[26:27], s[16:17], v[34:35]
	s_load_dwordx2 s[4:5], s[4:5], 0x0
	v_fma_f64 v[32:33], v[6:7], s[8:9], v[32:33]
	v_fma_f64 v[34:35], v[22:23], s[6:7], v[38:39]
	v_fma_f64 v[38:39], v[60:61], s[6:7], -v[44:45]
	v_fma_f64 v[44:45], v[64:65], s[8:9], -v[50:51]
	v_fma_f64 v[50:51], v[6:7], s[18:19], v[36:37]
	v_fma_f64 v[42:43], v[22:23], s[16:17], v[42:43]
	;; [unrolled: 1-line block ×5, first 2 shown]
	v_fma_f64 v[60:61], v[20:21], s[0:1], -v[62:63]
	v_fma_f64 v[62:63], v[40:41], s[14:15], -v[70:71]
	v_and_b32_e32 v0, 0xff, v72
	v_add_f64 v[2:3], v[12:13], v[10:11]
	v_add_f64 v[6:7], v[10:11], -v[12:13]
	v_mul_lo_u16 v0, 0xcd, v0
	v_lshrrev_b16 v17, 11, v0
	v_add_f64 v[0:1], v[4:5], v[8:9]
	v_add_f64 v[4:5], v[8:9], -v[4:5]
	v_add_f64 v[8:9], v[28:29], v[32:33]
	v_add_f64 v[12:13], v[30:31], v[34:35]
	;; [unrolled: 1-line block ×6, first 2 shown]
	v_add_f64 v[27:28], v[28:29], -v[32:33]
	v_add_f64 v[21:22], v[68:69], v[60:61]
	v_add_f64 v[25:26], v[46:47], v[62:63]
	v_add_f64 v[31:32], v[30:31], -v[34:35]
	v_add_f64 v[35:36], v[56:57], -v[38:39]
	;; [unrolled: 1-line block ×6, first 2 shown]
	v_mul_lo_u16 v16, v17, 10
	v_add_f64 v[37:38], v[68:69], -v[60:61]
	v_mul_u32_u24_e32 v43, 10, v72
	v_mov_b32_e32 v44, 9
	v_sub_nc_u16 v18, v72, v16
	v_lshl_add_u32 v16, v43, 4, 0
	ds_write_b128 v16, v[0:3]
	ds_write_b128 v16, v[4:7] offset:80
	ds_write_b128 v16, v[8:11] offset:16
	;; [unrolled: 1-line block ×8, first 2 shown]
	v_mul_u32_u24_sdwa v43, v18, v44 dst_sel:DWORD dst_unused:UNUSED_PAD src0_sel:BYTE_0 src1_sel:DWORD
	v_mad_i32_i24 v51, 0xffffff70, v72, v16
	ds_write_b128 v16, v[39:42] offset:144
	v_lshlrev_b32_e32 v35, 4, v43
	s_waitcnt lgkmcnt(0)
	s_barrier
	buffer_gl0_inv
	s_clause 0x8
	global_load_dwordx4 v[0:3], v35, s[12:13] offset:32
	global_load_dwordx4 v[4:7], v35, s[12:13] offset:64
	;; [unrolled: 1-line block ×4, first 2 shown]
	global_load_dwordx4 v[19:22], v35, s[12:13]
	global_load_dwordx4 v[23:26], v35, s[12:13] offset:16
	global_load_dwordx4 v[27:30], v35, s[12:13] offset:48
	;; [unrolled: 1-line block ×4, first 2 shown]
	ds_read_b128 v[39:42], v51 offset:6240
	ds_read_b128 v[43:46], v51 offset:10400
	;; [unrolled: 1-line block ×9, first 2 shown]
	ds_read_b128 v[81:84], v51
	s_waitcnt vmcnt(0) lgkmcnt(0)
	s_barrier
	buffer_gl0_inv
	v_mul_f64 v[85:86], v[41:42], v[2:3]
	v_mul_f64 v[2:3], v[39:40], v[2:3]
	;; [unrolled: 1-line block ×16, first 2 shown]
	v_fma_f64 v[39:40], v[39:40], v[0:1], -v[85:86]
	v_fma_f64 v[0:1], v[41:42], v[0:1], v[2:3]
	v_fma_f64 v[2:3], v[43:44], v[4:5], -v[87:88]
	v_fma_f64 v[4:5], v[45:46], v[4:5], v[6:7]
	v_fma_f64 v[6:7], v[49:50], v[8:9], v[89:90]
	;; [unrolled: 1-line block ×3, first 2 shown]
	v_fma_f64 v[12:13], v[56:57], v[12:13], -v[14:15]
	v_fma_f64 v[8:9], v[47:48], v[8:9], -v[10:11]
	v_mul_f64 v[10:11], v[73:74], v[33:34]
	v_mul_f64 v[14:15], v[77:78], v[37:38]
	v_fma_f64 v[33:34], v[64:65], v[23:24], -v[95:96]
	v_fma_f64 v[47:48], v[60:61], v[19:20], -v[93:94]
	;; [unrolled: 1-line block ×3, first 2 shown]
	v_fma_f64 v[19:20], v[62:63], v[19:20], v[21:22]
	v_fma_f64 v[21:22], v[66:67], v[23:24], v[25:26]
	;; [unrolled: 1-line block ×3, first 2 shown]
	v_fma_f64 v[43:44], v[73:74], v[31:32], -v[99:100]
	v_fma_f64 v[45:46], v[77:78], v[35:36], -v[101:102]
	v_add_f64 v[89:90], v[39:40], -v[2:3]
	v_add_f64 v[93:94], v[2:3], -v[39:40]
	v_add_f64 v[25:26], v[4:5], v[6:7]
	v_add_f64 v[27:28], v[0:1], v[41:42]
	;; [unrolled: 1-line block ×4, first 2 shown]
	v_fma_f64 v[10:11], v[75:76], v[31:32], v[10:11]
	v_fma_f64 v[14:15], v[79:80], v[35:36], v[14:15]
	v_add_f64 v[56:57], v[2:3], -v[8:9]
	v_add_f64 v[58:59], v[4:5], -v[6:7]
	;; [unrolled: 1-line block ×6, first 2 shown]
	v_add_f64 v[31:32], v[37:38], v[43:44]
	v_add_f64 v[35:36], v[33:34], v[45:46]
	v_add_f64 v[97:98], v[0:1], -v[4:5]
	v_add_f64 v[99:100], v[41:42], -v[6:7]
	;; [unrolled: 1-line block ×4, first 2 shown]
	v_add_f64 v[68:69], v[81:82], v[33:34]
	v_add_f64 v[70:71], v[33:34], -v[37:38]
	v_add_f64 v[73:74], v[45:46], -v[43:44]
	;; [unrolled: 1-line block ×3, first 2 shown]
	v_fma_f64 v[25:26], v[25:26], -0.5, v[19:20]
	v_fma_f64 v[27:28], v[27:28], -0.5, v[19:20]
	;; [unrolled: 1-line block ×4, first 2 shown]
	v_add_f64 v[64:65], v[23:24], v[10:11]
	v_add_f64 v[66:67], v[21:22], v[14:15]
	;; [unrolled: 1-line block ×3, first 2 shown]
	v_add_f64 v[79:80], v[43:44], -v[45:46]
	v_add_f64 v[85:86], v[21:22], -v[23:24]
	;; [unrolled: 1-line block ×5, first 2 shown]
	v_add_f64 v[39:40], v[47:48], v[39:40]
	v_add_f64 v[0:1], v[19:20], v[0:1]
	v_add_f64 v[19:20], v[33:34], -v[45:46]
	v_add_f64 v[21:22], v[21:22], -v[14:15]
	v_fma_f64 v[31:32], v[31:32], -0.5, v[81:82]
	v_fma_f64 v[33:34], v[35:36], -0.5, v[81:82]
	v_add_f64 v[47:48], v[89:90], v[91:92]
	v_add_f64 v[81:82], v[97:98], v[99:100]
	;; [unrolled: 1-line block ×3, first 2 shown]
	v_add_f64 v[87:88], v[14:15], -v[10:11]
	v_fma_f64 v[105:106], v[62:63], s[0:1], v[25:26]
	v_fma_f64 v[107:108], v[56:57], s[6:7], v[27:28]
	;; [unrolled: 1-line block ×8, first 2 shown]
	v_fma_f64 v[35:36], v[64:65], -0.5, v[83:84]
	v_add_f64 v[64:65], v[93:94], v[95:96]
	v_fma_f64 v[66:67], v[66:67], -0.5, v[83:84]
	v_add_f64 v[83:84], v[10:11], -v[14:15]
	v_add_f64 v[37:38], v[68:69], v[37:38]
	v_add_f64 v[23:24], v[77:78], v[23:24]
	;; [unrolled: 1-line block ×4, first 2 shown]
	v_fma_f64 v[4:5], v[21:22], s[6:7], v[31:32]
	v_fma_f64 v[31:32], v[21:22], s[0:1], v[31:32]
	;; [unrolled: 1-line block ×12, first 2 shown]
	v_add_f64 v[56:57], v[70:71], v[73:74]
	v_add_f64 v[58:59], v[75:76], v[79:80]
	v_fma_f64 v[60:61], v[19:20], s[0:1], v[35:36]
	v_fma_f64 v[35:36], v[19:20], s[6:7], v[35:36]
	;; [unrolled: 1-line block ×4, first 2 shown]
	v_add_f64 v[37:38], v[37:38], v[43:44]
	v_add_f64 v[10:11], v[23:24], v[10:11]
	;; [unrolled: 1-line block ×4, first 2 shown]
	v_fma_f64 v[4:5], v[117:118], s[8:9], v[4:5]
	v_fma_f64 v[6:7], v[117:118], s[14:15], v[31:32]
	;; [unrolled: 1-line block ×12, first 2 shown]
	v_add_f64 v[49:50], v[85:86], v[87:88]
	v_add_f64 v[64:65], v[113:114], v[83:84]
	v_fma_f64 v[23:24], v[115:116], s[14:15], v[60:61]
	v_fma_f64 v[31:32], v[115:116], s[8:9], v[35:36]
	;; [unrolled: 1-line block ×4, first 2 shown]
	v_add_f64 v[37:38], v[37:38], v[45:46]
	v_add_f64 v[10:11], v[10:11], v[14:15]
	v_add_f64 v[12:13], v[2:3], v[12:13]
	v_add_f64 v[14:15], v[0:1], v[41:42]
	v_fma_f64 v[41:42], v[56:57], s[16:17], v[4:5]
	v_fma_f64 v[45:46], v[56:57], s[16:17], v[6:7]
	;; [unrolled: 1-line block ×4, first 2 shown]
	v_mul_f64 v[33:34], v[62:63], s[8:9]
	v_mul_f64 v[35:36], v[68:69], s[6:7]
	;; [unrolled: 1-line block ×8, first 2 shown]
	v_fma_f64 v[6:7], v[49:50], s[16:17], v[23:24]
	v_fma_f64 v[23:24], v[49:50], s[16:17], v[31:32]
	v_fma_f64 v[60:61], v[64:65], s[16:17], v[60:61]
	v_fma_f64 v[19:20], v[64:65], s[16:17], v[19:20]
	v_add_f64 v[0:1], v[37:38], v[12:13]
	v_add_f64 v[2:3], v[10:11], v[14:15]
	v_fma_f64 v[49:50], v[73:74], s[18:19], v[33:34]
	v_fma_f64 v[58:59], v[29:30], s[16:17], v[35:36]
	v_fma_f64 v[73:74], v[27:28], s[6:7], -v[39:40]
	v_fma_f64 v[27:28], v[62:63], s[18:19], v[43:44]
	v_fma_f64 v[25:26], v[25:26], s[8:9], -v[66:67]
	;; [unrolled: 2-line block ×3, first 2 shown]
	v_fma_f64 v[66:67], v[47:48], s[14:15], -v[79:80]
	v_add_f64 v[32:33], v[37:38], -v[12:13]
	v_add_f64 v[34:35], v[10:11], -v[14:15]
	v_mov_b32_e32 v68, 0x640
	v_mov_b32_e32 v69, 4
	v_cmp_gt_u32_e64 s0, 0x64, v72
	v_mul_u32_u24_sdwa v17, v17, v68 dst_sel:DWORD dst_unused:UNUSED_PAD src0_sel:WORD_0 src1_sel:DWORD
	v_lshlrev_b32_sdwa v18, v69, v18 dst_sel:DWORD dst_unused:UNUSED_PAD src0_sel:DWORD src1_sel:BYTE_0
	v_add3_u32 v17, 0, v17, v18
	v_add_f64 v[8:9], v[41:42], v[49:50]
	v_add_f64 v[4:5], v[56:57], v[58:59]
	;; [unrolled: 1-line block ×4, first 2 shown]
	v_add_f64 v[36:37], v[41:42], -v[49:50]
	v_add_f64 v[38:39], v[6:7], -v[27:28]
	v_add_f64 v[28:29], v[45:46], v[25:26]
	v_add_f64 v[6:7], v[60:61], v[62:63]
	;; [unrolled: 1-line block ×4, first 2 shown]
	v_add_f64 v[48:49], v[56:57], -v[58:59]
	v_add_f64 v[40:41], v[21:22], -v[73:74]
	;; [unrolled: 1-line block ×6, first 2 shown]
	ds_write_b128 v17, v[0:3]
	ds_write_b128 v17, v[32:35] offset:800
	ds_write_b128 v17, v[8:11] offset:160
	;; [unrolled: 1-line block ×9, first 2 shown]
	s_waitcnt lgkmcnt(0)
	s_barrier
	buffer_gl0_inv
                                        ; implicit-def: $vgpr22_vgpr23
                                        ; implicit-def: $vgpr18_vgpr19
                                        ; implicit-def: $vgpr26_vgpr27
	s_and_saveexec_b32 s1, s0
	s_cbranch_execz .LBB0_15
; %bb.14:
	v_mul_i32_i24_e32 v0, 0xffffff70, v72
	v_add_nc_u32_e32 v20, v16, v0
	ds_read_b128 v[0:3], v20
	ds_read_b128 v[8:11], v20 offset:1600
	ds_read_b128 v[4:7], v20 offset:3200
	;; [unrolled: 1-line block ×12, first 2 shown]
.LBB0_15:
	s_or_b32 exec_lo, exec_lo, s1
	v_cmp_gt_u32_e64 s1, 0x64, v72
	s_and_b32 s1, vcc_lo, s1
	s_and_saveexec_b32 s6, s1
	s_cbranch_execz .LBB0_17
; %bb.16:
	v_add_nc_u32_e32 v56, 0xffffff9c, v72
	v_mov_b32_e32 v57, 0
	s_mov_b32 s6, 0x1ea71119
	s_mov_b32 s7, 0x3fe22d96
	s_mov_b32 s8, 0x42a4c3d2
	v_cndmask_b32_e64 v56, v56, v72, s0
	s_mov_b32 s0, 0xe00740e9
	s_mov_b32 s1, 0x3fec55a7
	;; [unrolled: 1-line block ×4, first 2 shown]
	v_mul_i32_i24_e32 v56, 12, v56
	s_mov_b32 s15, 0xbfd6b1d8
	s_mov_b32 s22, 0x2ef20147
	;; [unrolled: 1-line block ×4, first 2 shown]
	v_lshlrev_b64 v[56:57], 4, v[56:57]
	s_mov_b32 s26, s22
	s_mov_b32 s16, 0xd0032e0c
	;; [unrolled: 1-line block ×5, first 2 shown]
	v_add_co_u32 v73, vcc_lo, s12, v56
	v_add_co_ci_u32_e32 v74, vcc_lo, s13, v57, vcc_lo
	s_mov_b32 s12, 0x4267c47c
	s_mov_b32 s13, 0xbfddbe06
	;; [unrolled: 1-line block ×3, first 2 shown]
	s_clause 0x2
	global_load_dwordx4 v[56:59], v[73:74], off offset:1520
	global_load_dwordx4 v[60:63], v[73:74], off offset:1536
	;; [unrolled: 1-line block ×3, first 2 shown]
	s_mov_b32 s18, s24
	s_mov_b32 s20, 0x93053d00
	;; [unrolled: 1-line block ×12, first 2 shown]
	s_waitcnt vmcnt(2) lgkmcnt(6)
	v_mul_f64 v[68:69], v[38:39], v[56:57]
	v_mul_f64 v[70:71], v[38:39], v[58:59]
	v_fma_f64 v[38:39], v[36:37], v[58:59], v[68:69]
	v_fma_f64 v[36:37], v[36:37], v[56:57], -v[70:71]
	global_load_dwordx4 v[56:59], v[73:74], off offset:1552
	s_waitcnt vmcnt(2) lgkmcnt(5)
	v_mul_f64 v[68:69], v[50:51], v[60:61]
	v_mul_f64 v[70:71], v[50:51], v[62:63]
	v_fma_f64 v[50:51], v[48:49], v[62:63], v[68:69]
	v_fma_f64 v[48:49], v[48:49], v[60:61], -v[70:71]
	global_load_dwordx4 v[60:63], v[73:74], off offset:1488
	s_waitcnt vmcnt(2)
	v_mul_f64 v[68:69], v[34:35], v[64:65]
	v_mul_f64 v[70:71], v[34:35], v[66:67]
	v_add_f64 v[81:82], v[36:37], v[48:49]
	v_fma_f64 v[34:35], v[32:33], v[66:67], v[68:69]
	v_fma_f64 v[32:33], v[32:33], v[64:65], -v[70:71]
	global_load_dwordx4 v[64:67], v[73:74], off offset:1568
	s_waitcnt vmcnt(2) lgkmcnt(4)
	v_mul_f64 v[68:69], v[42:43], v[56:57]
	v_mul_f64 v[70:71], v[42:43], v[58:59]
	v_fma_f64 v[42:43], v[40:41], v[58:59], v[68:69]
	v_fma_f64 v[40:41], v[40:41], v[56:57], -v[70:71]
	global_load_dwordx4 v[68:71], v[73:74], off offset:1472
	s_waitcnt vmcnt(2)
	v_mul_f64 v[56:57], v[30:31], v[60:61]
	v_mul_f64 v[58:59], v[30:31], v[62:63]
	v_add_f64 v[83:84], v[34:35], v[42:43]
	v_fma_f64 v[30:31], v[28:29], v[62:63], v[56:57]
	v_fma_f64 v[28:29], v[28:29], v[60:61], -v[58:59]
	global_load_dwordx4 v[58:61], v[73:74], off offset:1584
	s_waitcnt vmcnt(2) lgkmcnt(3)
	v_mul_f64 v[56:57], v[46:47], v[64:65]
	v_mul_f64 v[62:63], v[46:47], v[66:67]
	;; [unrolled: 1-line block ×3, first 2 shown]
	v_fma_f64 v[46:47], v[44:45], v[66:67], v[56:57]
	v_fma_f64 v[44:45], v[44:45], v[64:65], -v[62:63]
	global_load_dwordx4 v[62:65], v[73:74], off offset:1440
	v_add_f64 v[87:88], v[30:31], v[46:47]
	v_add_f64 v[85:86], v[28:29], -v[44:45]
	v_mul_f64 v[91:92], v[87:88], s[14:15]
	s_waitcnt vmcnt(2)
	v_mul_f64 v[56:57], v[14:15], v[68:69]
	v_mul_f64 v[14:15], v[14:15], v[70:71]
	v_fma_f64 v[56:57], v[12:13], v[70:71], v[56:57]
	v_fma_f64 v[12:13], v[12:13], v[68:69], -v[14:15]
	global_load_dwordx4 v[66:69], v[73:74], off offset:1456
	s_waitcnt vmcnt(2) lgkmcnt(2)
	v_mul_f64 v[14:15], v[26:27], v[58:59]
	v_mul_f64 v[70:71], v[26:27], v[60:61]
	v_fma_f64 v[26:27], v[24:25], v[60:61], v[14:15]
	v_fma_f64 v[14:15], v[24:25], v[58:59], -v[70:71]
	global_load_dwordx4 v[58:61], v[73:74], off offset:1600
	s_waitcnt vmcnt(2)
	v_mul_f64 v[24:25], v[10:11], v[62:63]
	v_mul_f64 v[70:71], v[10:11], v[64:65]
	v_fma_f64 v[10:11], v[8:9], v[64:65], v[24:25]
	v_fma_f64 v[8:9], v[8:9], v[62:63], -v[70:71]
	global_load_dwordx4 v[62:65], v[73:74], off offset:1616
	s_waitcnt vmcnt(2)
	v_mul_f64 v[24:25], v[6:7], v[66:67]
	v_mul_f64 v[6:7], v[6:7], v[68:69]
	v_fma_f64 v[24:25], v[4:5], v[68:69], v[24:25]
	v_fma_f64 v[6:7], v[4:5], v[66:67], -v[6:7]
	v_add_f64 v[4:5], v[2:3], v[10:11]
	v_add_f64 v[66:67], v[0:1], v[8:9]
	s_waitcnt vmcnt(1) lgkmcnt(1)
	v_mul_f64 v[68:69], v[18:19], v[58:59]
	v_mul_f64 v[70:71], v[18:19], v[60:61]
	v_add_f64 v[4:5], v[24:25], v[4:5]
	v_add_f64 v[66:67], v[6:7], v[66:67]
	v_fma_f64 v[18:19], v[16:17], v[60:61], v[68:69]
	v_fma_f64 v[16:17], v[16:17], v[58:59], -v[70:71]
	s_waitcnt vmcnt(0) lgkmcnt(0)
	v_mul_f64 v[73:74], v[22:23], v[62:63]
	v_mul_f64 v[58:59], v[22:23], v[64:65]
	v_add_f64 v[4:5], v[56:57], v[4:5]
	v_add_f64 v[66:67], v[12:13], v[66:67]
	v_fma_f64 v[22:23], v[20:21], v[64:65], v[73:74]
	v_fma_f64 v[20:21], v[20:21], v[62:63], -v[58:59]
	v_mad_u64_u32 v[64:65], null, s4, v54, 0
	v_mad_u64_u32 v[58:59], null, s2, v72, 0
	v_add_f64 v[4:5], v[30:31], v[4:5]
	v_add_f64 v[66:67], v[28:29], v[66:67]
	v_add_f64 v[30:31], v[30:31], -v[46:47]
	v_add_f64 v[75:76], v[10:11], -v[22:23]
	;; [unrolled: 1-line block ×3, first 2 shown]
	v_add_f64 v[4:5], v[34:35], v[4:5]
	v_add_f64 v[66:67], v[32:33], v[66:67]
	v_mul_f64 v[93:94], v[30:31], s[26:27]
	v_add_f64 v[4:5], v[38:39], v[4:5]
	v_add_f64 v[66:67], v[36:37], v[66:67]
	;; [unrolled: 1-line block ×6, first 2 shown]
	v_add_f64 v[42:43], v[34:35], -v[42:43]
	v_add_f64 v[4:5], v[46:47], v[4:5]
	v_add_f64 v[66:67], v[44:45], v[66:67]
	;; [unrolled: 1-line block ×4, first 2 shown]
	v_mul_f64 v[97:98], v[42:43], s[18:19]
	v_add_f64 v[60:61], v[26:27], v[4:5]
	v_add_f64 v[62:63], v[14:15], v[66:67]
	;; [unrolled: 1-line block ×3, first 2 shown]
	v_mul_lo_u32 v66, s5, v54
	v_mul_lo_u32 v67, s4, v55
	v_add_f64 v[54:55], v[24:25], v[18:19]
	s_mov_b32 s4, 0xebaa3ed8
	s_mov_b32 s5, 0x3fbedb7d
	v_add3_u32 v65, v65, v67, v66
	v_lshlrev_b64 v[66:67], 4, v[52:53]
	v_add_f64 v[52:53], v[24:25], -v[18:19]
	v_lshlrev_b64 v[79:80], 4, v[64:65]
	v_add_f64 v[64:65], v[56:57], v[26:27]
	v_add_f64 v[56:57], v[56:57], -v[26:27]
	v_add_f64 v[26:27], v[36:37], -v[48:49]
	;; [unrolled: 1-line block ×3, first 2 shown]
	v_add_f64 v[70:71], v[18:19], v[60:61]
	v_add_f64 v[73:74], v[16:17], v[62:63]
	v_mul_f64 v[77:78], v[4:5], s[0:1]
	v_mad_u64_u32 v[10:11], null, s3, v72, v[59:60]
	v_add_f64 v[60:61], v[6:7], -v[16:17]
	v_add_f64 v[18:19], v[8:9], v[20:21]
	v_mul_f64 v[62:63], v[54:55], s[6:7]
	v_mov_b32_e32 v59, v10
	v_lshlrev_b64 v[24:25], 4, v[58:59]
	v_add_f64 v[58:59], v[12:13], -v[14:15]
	v_mul_f64 v[99:100], v[48:49], s[28:29]
	v_add_f64 v[10:11], v[22:23], v[70:71]
	v_add_f64 v[8:9], v[20:21], v[73:74]
	v_mul_f64 v[20:21], v[75:76], s[12:13]
	v_fma_f64 v[22:23], v[68:69], s[12:13], v[77:78]
	v_add_co_u32 v70, vcc_lo, s10, v79
	v_add_co_ci_u32_e32 v71, vcc_lo, s11, v80, vcc_lo
	v_mul_f64 v[79:80], v[64:65], s[4:5]
	v_add_co_u32 v73, vcc_lo, v70, v66
	v_add_co_ci_u32_e32 v74, vcc_lo, v71, v67, vcc_lo
	v_add_f64 v[66:67], v[6:7], v[16:17]
	v_add_co_u32 v24, vcc_lo, v73, v24
	v_add_co_ci_u32_e32 v25, vcc_lo, v74, v25, vcc_lo
	v_mul_f64 v[70:71], v[52:53], s[8:9]
	v_fma_f64 v[6:7], v[60:61], s[8:9], v[62:63]
	s_mov_b32 s10, 0x66966769
	s_mov_b32 s11, 0xbfefc445
	;; [unrolled: 1-line block ×3, first 2 shown]
	global_store_dwordx4 v[24:25], v[8:11], off
	v_fma_f64 v[8:9], v[18:19], s[0:1], -v[20:21]
	v_add_f64 v[10:11], v[2:3], v[22:23]
	v_mul_f64 v[89:90], v[56:57], s[10:11]
	v_add_f64 v[24:25], v[38:39], v[50:51]
	v_add_f64 v[50:51], v[32:33], -v[40:41]
	v_add_f64 v[40:41], v[32:33], v[40:41]
	v_fma_f64 v[36:37], v[68:69], s[34:35], v[77:78]
	v_mul_f64 v[38:39], v[75:76], s[28:29]
	v_mul_f64 v[77:78], v[75:76], s[26:27]
	;; [unrolled: 1-line block ×3, first 2 shown]
	v_fma_f64 v[12:13], v[66:67], s[6:7], -v[70:71]
	v_add_f64 v[8:9], v[0:1], v[8:9]
	v_add_f64 v[6:7], v[6:7], v[10:11]
	v_fma_f64 v[10:11], v[58:59], s[10:11], v[79:80]
	v_mul_f64 v[34:35], v[24:25], s[20:21]
	v_add_f64 v[123:124], v[2:3], v[36:37]
	v_fma_f64 v[103:104], v[18:19], s[20:21], v[38:39]
	v_fma_f64 v[38:39], v[18:19], s[20:21], -v[38:39]
	v_fma_f64 v[107:108], v[18:19], s[14:15], v[77:78]
	v_fma_f64 v[77:78], v[18:19], s[14:15], -v[77:78]
	;; [unrolled: 2-line block ×3, first 2 shown]
	v_mul_f64 v[36:37], v[24:25], s[4:5]
	v_add_f64 v[8:9], v[12:13], v[8:9]
	v_fma_f64 v[12:13], v[46:47], s[4:5], -v[89:90]
	v_add_f64 v[6:7], v[10:11], v[6:7]
	v_fma_f64 v[10:11], v[85:86], s[26:27], v[91:92]
	v_add_f64 v[38:39], v[0:1], v[38:39]
	v_add_f64 v[107:108], v[0:1], v[107:108]
	;; [unrolled: 1-line block ×6, first 2 shown]
	v_add_nc_u32_e32 v12, 0x64, v72
	v_add_f64 v[6:7], v[10:11], v[6:7]
	v_fma_f64 v[10:11], v[44:45], s[14:15], -v[93:94]
	v_add_f64 v[8:9], v[10:11], v[8:9]
	v_fma_f64 v[10:11], v[50:51], s[18:19], v[95:96]
	v_add_f64 v[6:7], v[10:11], v[6:7]
	v_fma_f64 v[10:11], v[40:41], s[16:17], -v[97:98]
	v_add_f64 v[10:11], v[10:11], v[8:9]
	v_fma_f64 v[8:9], v[26:27], s[28:29], v[34:35]
	v_add_f64 v[8:9], v[8:9], v[6:7]
	v_fma_f64 v[6:7], v[81:82], s[20:21], -v[99:100]
	v_add_f64 v[6:7], v[6:7], v[10:11]
	v_mad_u64_u32 v[10:11], null, s2, v12, 0
	v_mad_u64_u32 v[11:12], null, s3, v12, v[11:12]
	v_mul_f64 v[12:13], v[4:5], s[4:5]
	v_lshlrev_b64 v[10:11], 4, v[10:11]
	v_add_co_u32 v10, vcc_lo, v73, v10
	v_add_co_ci_u32_e32 v11, vcc_lo, v74, v11, vcc_lo
	global_store_dwordx4 v[10:11], v[6:9], off
	v_mul_f64 v[6:7], v[4:5], s[20:21]
	v_mul_f64 v[8:9], v[4:5], s[16:17]
	;; [unrolled: 1-line block ×4, first 2 shown]
	v_fma_f64 v[28:29], v[68:69], s[36:37], v[12:13]
	v_fma_f64 v[12:13], v[68:69], s[10:11], v[12:13]
	;; [unrolled: 1-line block ×10, first 2 shown]
	v_mul_f64 v[68:69], v[75:76], s[18:19]
	v_mul_f64 v[75:76], v[75:76], s[8:9]
	v_add_f64 v[115:116], v[2:3], v[28:29]
	v_add_f64 v[117:118], v[2:3], v[12:13]
	v_mul_f64 v[12:13], v[64:65], s[16:17]
	v_mul_f64 v[28:29], v[83:84], s[14:15]
	v_add_f64 v[14:15], v[2:3], v[14:15]
	v_add_f64 v[6:7], v[2:3], v[6:7]
	;; [unrolled: 1-line block ×7, first 2 shown]
	v_fma_f64 v[105:106], v[18:19], s[16:17], v[68:69]
	v_fma_f64 v[68:69], v[18:19], s[16:17], -v[68:69]
	v_fma_f64 v[111:112], v[18:19], s[6:7], v[75:76]
	v_fma_f64 v[75:76], v[18:19], s[6:7], -v[75:76]
	v_fma_f64 v[18:19], v[18:19], s[0:1], v[20:21]
	v_add_f64 v[20:21], v[0:1], v[103:104]
	v_mul_f64 v[4:5], v[52:53], s[34:35]
	v_fma_f64 v[10:11], v[58:59], s[24:25], v[12:13]
	v_mul_f64 v[32:33], v[42:43], s[26:27]
	v_add_f64 v[103:104], v[0:1], v[105:106]
	v_add_f64 v[68:69], v[0:1], v[68:69]
	;; [unrolled: 1-line block ×5, first 2 shown]
	v_mul_f64 v[0:1], v[54:55], s[0:1]
	v_add_f64 v[105:106], v[2:3], v[8:9]
	v_fma_f64 v[8:9], v[66:67], s[0:1], v[4:5]
	v_mul_f64 v[18:19], v[87:88], s[6:7]
	v_fma_f64 v[4:5], v[66:67], s[0:1], -v[4:5]
	v_fma_f64 v[2:3], v[60:61], s[12:13], v[0:1]
	v_fma_f64 v[0:1], v[60:61], s[34:35], v[0:1]
	v_add_f64 v[8:9], v[8:9], v[20:21]
	v_mul_f64 v[20:21], v[30:31], s[38:39]
	v_add_f64 v[4:5], v[4:5], v[38:39]
	v_add_f64 v[2:3], v[2:3], v[14:15]
	v_mul_f64 v[14:15], v[56:57], s[18:19]
	v_add_f64 v[0:1], v[0:1], v[6:7]
	v_fma_f64 v[6:7], v[58:59], s[18:19], v[12:13]
	v_add_f64 v[2:3], v[10:11], v[2:3]
	v_fma_f64 v[10:11], v[46:47], s[16:17], v[14:15]
	v_add_f64 v[0:1], v[6:7], v[0:1]
	v_fma_f64 v[6:7], v[46:47], s[16:17], -v[14:15]
	v_add_f64 v[8:9], v[10:11], v[8:9]
	v_fma_f64 v[10:11], v[85:86], s[8:9], v[18:19]
	v_add_f64 v[4:5], v[6:7], v[4:5]
	v_fma_f64 v[6:7], v[85:86], s[38:39], v[18:19]
	v_add_f64 v[2:3], v[10:11], v[2:3]
	v_fma_f64 v[10:11], v[44:45], s[6:7], v[20:21]
	v_add_f64 v[0:1], v[6:7], v[0:1]
	v_fma_f64 v[6:7], v[44:45], s[6:7], -v[20:21]
	v_add_f64 v[8:9], v[10:11], v[8:9]
	v_fma_f64 v[10:11], v[50:51], s[22:23], v[28:29]
	;; [unrolled: 8-line block ×3, first 2 shown]
	v_add_f64 v[4:5], v[6:7], v[4:5]
	v_fma_f64 v[6:7], v[26:27], s[36:37], v[36:37]
	v_add_f64 v[10:11], v[10:11], v[2:3]
	v_mul_f64 v[2:3], v[48:49], s[36:37]
	v_add_f64 v[14:15], v[6:7], v[0:1]
	v_mul_f64 v[6:7], v[52:53], s[36:37]
	v_fma_f64 v[127:128], v[81:82], s[4:5], v[2:3]
	v_fma_f64 v[2:3], v[81:82], s[4:5], -v[2:3]
	v_add_f64 v[8:9], v[127:128], v[8:9]
	v_add_f64 v[12:13], v[2:3], v[4:5]
	v_mul_f64 v[4:5], v[54:55], s[4:5]
	v_fma_f64 v[2:3], v[66:67], s[4:5], v[6:7]
	v_fma_f64 v[6:7], v[66:67], s[4:5], -v[6:7]
	v_mul_f64 v[127:128], v[48:49], s[26:27]
	v_fma_f64 v[0:1], v[60:61], s[10:11], v[4:5]
	v_add_f64 v[2:3], v[2:3], v[103:104]
	v_fma_f64 v[4:5], v[60:61], s[36:37], v[4:5]
	v_add_f64 v[6:7], v[6:7], v[68:69]
	v_mul_f64 v[103:104], v[24:25], s[14:15]
	v_add_f64 v[0:1], v[0:1], v[16:17]
	v_mul_f64 v[16:17], v[64:65], s[6:7]
	v_add_f64 v[4:5], v[4:5], v[105:106]
	v_fma_f64 v[18:19], v[58:59], s[38:39], v[16:17]
	v_fma_f64 v[16:17], v[58:59], s[8:9], v[16:17]
	v_add_f64 v[0:1], v[18:19], v[0:1]
	v_mul_f64 v[18:19], v[56:57], s[8:9]
	v_add_f64 v[4:5], v[16:17], v[4:5]
	v_fma_f64 v[20:21], v[46:47], s[6:7], v[18:19]
	v_fma_f64 v[16:17], v[46:47], s[6:7], -v[18:19]
	v_add_f64 v[2:3], v[20:21], v[2:3]
	v_mul_f64 v[20:21], v[87:88], s[20:21]
	v_add_f64 v[6:7], v[16:17], v[6:7]
	v_fma_f64 v[28:29], v[85:86], s[28:29], v[20:21]
	v_fma_f64 v[16:17], v[85:86], s[30:31], v[20:21]
	v_fma_f64 v[20:21], v[81:82], s[14:15], -v[127:128]
	v_add_f64 v[0:1], v[28:29], v[0:1]
	v_mul_f64 v[28:29], v[30:31], s[30:31]
	v_add_f64 v[4:5], v[16:17], v[4:5]
	v_fma_f64 v[32:33], v[44:45], s[20:21], v[28:29]
	v_fma_f64 v[16:17], v[44:45], s[20:21], -v[28:29]
	v_mul_f64 v[28:29], v[64:65], s[0:1]
	v_add_f64 v[2:3], v[32:33], v[2:3]
	v_mul_f64 v[32:33], v[83:84], s[0:1]
	v_add_f64 v[6:7], v[16:17], v[6:7]
	v_fma_f64 v[36:37], v[50:51], s[12:13], v[32:33]
	v_fma_f64 v[16:17], v[50:51], s[34:35], v[32:33]
	;; [unrolled: 1-line block ×4, first 2 shown]
	v_add_f64 v[0:1], v[36:37], v[0:1]
	v_mul_f64 v[36:37], v[42:43], s[34:35]
	v_add_f64 v[4:5], v[16:17], v[4:5]
	v_fma_f64 v[16:17], v[40:41], s[0:1], -v[36:37]
	v_fma_f64 v[38:39], v[40:41], s[0:1], v[36:37]
	v_add_f64 v[6:7], v[16:17], v[6:7]
	v_fma_f64 v[16:17], v[26:27], s[26:27], v[103:104]
	v_add_f64 v[38:39], v[38:39], v[2:3]
	;; [unrolled: 2-line block ×3, first 2 shown]
	v_add_f64 v[16:17], v[20:21], v[6:7]
	v_mul_f64 v[20:21], v[54:55], s[16:17]
	v_add_f64 v[2:3], v[2:3], v[0:1]
	v_fma_f64 v[0:1], v[81:82], s[14:15], v[127:128]
	v_mul_f64 v[127:128], v[48:49], s[38:39]
	v_fma_f64 v[4:5], v[60:61], s[18:19], v[20:21]
	v_fma_f64 v[20:21], v[60:61], s[24:25], v[20:21]
	v_add_f64 v[0:1], v[0:1], v[38:39]
	v_add_f64 v[4:5], v[4:5], v[22:23]
	v_mul_f64 v[22:23], v[52:53], s[24:25]
	v_add_f64 v[20:21], v[20:21], v[113:114]
	v_add_f64 v[4:5], v[32:33], v[4:5]
	v_fma_f64 v[6:7], v[66:67], s[16:17], v[22:23]
	v_mul_f64 v[32:33], v[56:57], s[34:35]
	v_fma_f64 v[22:23], v[66:67], s[16:17], -v[22:23]
	v_add_f64 v[20:21], v[28:29], v[20:21]
	v_add_f64 v[6:7], v[6:7], v[107:108]
	v_fma_f64 v[36:37], v[46:47], s[0:1], v[32:33]
	v_add_f64 v[22:23], v[22:23], v[77:78]
	v_fma_f64 v[28:29], v[46:47], s[0:1], -v[32:33]
	v_mul_f64 v[107:108], v[24:25], s[6:7]
	v_fma_f64 v[32:33], v[81:82], s[6:7], -v[127:128]
	v_add_f64 v[6:7], v[36:37], v[6:7]
	v_mul_f64 v[36:37], v[87:88], s[4:5]
	v_add_f64 v[22:23], v[28:29], v[22:23]
	v_fma_f64 v[38:39], v[85:86], s[36:37], v[36:37]
	v_fma_f64 v[28:29], v[85:86], s[10:11], v[36:37]
	v_mul_f64 v[36:37], v[24:25], s[0:1]
	v_add_f64 v[4:5], v[38:39], v[4:5]
	v_mul_f64 v[38:39], v[30:31], s[10:11]
	v_add_f64 v[20:21], v[28:29], v[20:21]
	v_fma_f64 v[68:69], v[44:45], s[4:5], v[38:39]
	v_fma_f64 v[28:29], v[44:45], s[4:5], -v[38:39]
	v_fma_f64 v[38:39], v[26:27], s[34:35], v[36:37]
	v_add_f64 v[6:7], v[68:69], v[6:7]
	v_mul_f64 v[68:69], v[83:84], s[20:21]
	v_add_f64 v[22:23], v[28:29], v[22:23]
	v_fma_f64 v[103:104], v[50:51], s[28:29], v[68:69]
	v_fma_f64 v[28:29], v[50:51], s[30:31], v[68:69]
	v_mul_f64 v[68:69], v[87:88], s[16:17]
	v_add_f64 v[4:5], v[103:104], v[4:5]
	v_mul_f64 v[103:104], v[42:43], s[30:31]
	v_add_f64 v[20:21], v[28:29], v[20:21]
	v_fma_f64 v[28:29], v[40:41], s[20:21], -v[103:104]
	v_fma_f64 v[105:106], v[40:41], s[20:21], v[103:104]
	v_add_f64 v[28:29], v[28:29], v[22:23]
	v_fma_f64 v[22:23], v[26:27], s[38:39], v[107:108]
	v_add_f64 v[105:106], v[105:106], v[6:7]
	;; [unrolled: 2-line block ×3, first 2 shown]
	v_add_f64 v[20:21], v[32:33], v[28:29]
	v_mul_f64 v[28:29], v[24:25], s[16:17]
	v_add_f64 v[6:7], v[6:7], v[4:5]
	v_fma_f64 v[4:5], v[81:82], s[6:7], v[127:128]
	v_fma_f64 v[24:25], v[26:27], s[24:25], v[28:29]
	;; [unrolled: 1-line block ×5, first 2 shown]
	v_mul_f64 v[26:27], v[83:84], s[6:7]
	v_mul_f64 v[34:35], v[83:84], s[4:5]
	v_add_f64 v[4:5], v[4:5], v[105:106]
	v_fma_f64 v[77:78], v[50:51], s[38:39], v[26:27]
	v_fma_f64 v[83:84], v[50:51], s[8:9], v[26:27]
	;; [unrolled: 1-line block ×5, first 2 shown]
	v_mul_f64 v[50:51], v[87:88], s[0:1]
	v_fma_f64 v[95:96], v[85:86], s[18:19], v[68:69]
	v_fma_f64 v[68:69], v[85:86], s[24:25], v[68:69]
	v_fma_f64 v[87:88], v[85:86], s[12:13], v[50:51]
	v_fma_f64 v[50:51], v[85:86], s[34:35], v[50:51]
	v_fma_f64 v[85:86], v[85:86], s[22:23], v[91:92]
	v_mul_f64 v[91:92], v[64:65], s[14:15]
	v_mul_f64 v[64:65], v[64:65], s[20:21]
	v_fma_f64 v[105:106], v[58:59], s[26:27], v[91:92]
	v_fma_f64 v[91:92], v[58:59], s[22:23], v[91:92]
	v_fma_f64 v[107:108], v[58:59], s[30:31], v[64:65]
	v_fma_f64 v[64:65], v[58:59], s[28:29], v[64:65]
	v_fma_f64 v[58:59], v[58:59], s[36:37], v[79:80]
	v_mul_f64 v[79:80], v[54:55], s[20:21]
	;; [unrolled: 7-line block ×3, first 2 shown]
	v_mul_f64 v[52:53], v[52:53], s[26:27]
	v_add_f64 v[79:80], v[79:80], v[117:118]
	v_add_f64 v[54:55], v[54:55], v[121:122]
	;; [unrolled: 1-line block ×3, first 2 shown]
	v_fma_f64 v[129:130], v[66:67], s[20:21], v[62:63]
	v_fma_f64 v[62:63], v[66:67], s[20:21], -v[62:63]
	v_fma_f64 v[131:132], v[66:67], s[14:15], v[52:53]
	v_fma_f64 v[52:53], v[66:67], s[14:15], -v[52:53]
	v_fma_f64 v[66:67], v[66:67], s[6:7], v[70:71]
	v_add_f64 v[70:71], v[113:114], v[115:116]
	v_mul_f64 v[113:114], v[56:57], s[22:23]
	v_mul_f64 v[56:57], v[56:57], s[28:29]
	v_add_f64 v[79:80], v[91:92], v[79:80]
	v_add_f64 v[64:65], v[64:65], v[54:55]
	v_mul_f64 v[54:55], v[42:43], s[8:9]
	v_add_f64 v[109:110], v[129:130], v[109:110]
	v_add_f64 v[62:63], v[62:63], v[101:102]
	v_add_f64 v[101:102], v[131:132], v[111:112]
	v_add_f64 v[52:53], v[52:53], v[75:76]
	v_add_f64 v[66:67], v[66:67], v[125:126]
	v_add_f64 v[70:71], v[105:106], v[70:71]
	v_fma_f64 v[115:116], v[46:47], s[14:15], v[113:114]
	v_fma_f64 v[129:130], v[46:47], s[20:21], v[56:57]
	v_fma_f64 v[56:57], v[46:47], s[20:21], -v[56:57]
	v_mul_f64 v[105:106], v[30:31], s[34:35]
	v_mul_f64 v[30:31], v[30:31], s[24:25]
	v_fma_f64 v[113:114], v[46:47], s[14:15], -v[113:114]
	v_fma_f64 v[46:47], v[46:47], s[4:5], v[89:90]
	v_add_f64 v[89:90], v[127:128], v[119:120]
	v_mul_f64 v[42:43], v[42:43], s[36:37]
	v_add_f64 v[79:80], v[50:51], v[79:80]
	v_add_f64 v[75:76], v[115:116], v[109:110]
	;; [unrolled: 1-line block ×3, first 2 shown]
	v_fma_f64 v[109:110], v[44:45], s[0:1], v[105:106]
	v_fma_f64 v[111:112], v[44:45], s[16:17], v[30:31]
	v_fma_f64 v[30:31], v[44:45], s[16:17], -v[30:31]
	v_fma_f64 v[105:106], v[44:45], s[0:1], -v[105:106]
	v_add_f64 v[91:92], v[113:114], v[62:63]
	v_fma_f64 v[44:45], v[44:45], s[14:15], v[93:94]
	v_add_f64 v[89:90], v[107:108], v[89:90]
	v_add_f64 v[93:94], v[129:130], v[101:102]
	;; [unrolled: 1-line block ×6, first 2 shown]
	v_fma_f64 v[87:88], v[40:41], s[6:7], -v[54:55]
	v_fma_f64 v[101:102], v[40:41], s[4:5], v[42:43]
	v_fma_f64 v[62:63], v[40:41], s[4:5], -v[42:43]
	v_add_f64 v[60:61], v[109:110], v[75:76]
	v_fma_f64 v[75:76], v[40:41], s[6:7], v[54:55]
	v_add_f64 v[68:69], v[30:31], v[52:53]
	v_mul_f64 v[30:31], v[48:49], s[18:19]
	v_add_f64 v[91:92], v[105:106], v[91:92]
	v_fma_f64 v[54:55], v[40:41], s[16:17], v[97:98]
	v_add_f64 v[89:90], v[95:96], v[89:90]
	v_add_f64 v[93:94], v[111:112], v[93:94]
	;; [unrolled: 1-line block ×4, first 2 shown]
	v_mul_f64 v[40:41], v[48:49], s[34:35]
	v_add_f64 v[50:51], v[77:78], v[58:59]
	v_add_f64 v[58:59], v[83:84], v[79:80]
	v_add_nc_u32_e32 v77, 0xc8, v72
	v_add_nc_u32_e32 v78, 0x12c, v72
	v_fma_f64 v[46:47], v[81:82], s[20:21], v[99:100]
	v_add_f64 v[70:71], v[34:35], v[70:71]
	v_add_nc_u32_e32 v79, 0x190, v72
	v_add_nc_u32_e32 v80, 0x1f4, v72
	;; [unrolled: 1-line block ×3, first 2 shown]
	v_add_f64 v[52:53], v[75:76], v[60:61]
	v_add_f64 v[62:63], v[62:63], v[68:69]
	v_fma_f64 v[56:57], v[81:82], s[16:17], v[30:31]
	v_fma_f64 v[48:49], v[81:82], s[16:17], -v[30:31]
	v_add_f64 v[60:61], v[87:88], v[91:92]
	v_add_f64 v[30:31], v[103:104], v[89:90]
	;; [unrolled: 1-line block ×5, first 2 shown]
	v_fma_f64 v[42:43], v[81:82], s[0:1], v[40:41]
	v_mad_u64_u32 v[64:65], null, s2, v77, 0
	v_add_f64 v[26:27], v[24:25], v[50:51]
	v_fma_f64 v[40:41], v[81:82], s[0:1], -v[40:41]
	v_add_f64 v[34:35], v[32:33], v[58:59]
	v_add_nc_u32_e32 v82, 0x2bc, v72
	v_mad_u64_u32 v[68:69], null, s2, v79, 0
	v_mad_u64_u32 v[58:59], null, s2, v80, 0
	v_add_nc_u32_e32 v81, 0x258, v72
	v_mad_u64_u32 v[75:76], null, s2, v82, 0
	v_add_f64 v[24:25], v[56:57], v[52:53]
	v_mad_u64_u32 v[56:57], null, s2, v78, 0
	v_add_f64 v[32:33], v[48:49], v[60:61]
	v_mov_b32_e32 v48, v65
	v_mad_u64_u32 v[60:61], null, s2, v81, 0
	v_add_f64 v[30:31], v[28:29], v[30:31]
	v_add_f64 v[28:29], v[42:43], v[44:45]
	v_mov_b32_e32 v49, v57
	v_add_f64 v[42:43], v[38:39], v[70:71]
	v_add_f64 v[38:39], v[36:37], v[66:67]
	;; [unrolled: 1-line block ×3, first 2 shown]
	v_mov_b32_e32 v46, v69
	v_mad_u64_u32 v[50:51], null, s3, v77, v[48:49]
	v_mov_b32_e32 v47, v59
	v_mad_u64_u32 v[44:45], null, s2, v83, 0
	v_add_f64 v[40:41], v[40:41], v[62:63]
	v_add_nc_u32_e32 v55, 0x44c, v72
	v_mad_u64_u32 v[51:52], null, s3, v79, v[46:47]
	v_mad_u64_u32 v[48:49], null, s3, v78, v[49:50]
	v_mov_b32_e32 v46, v76
	v_mov_b32_e32 v49, v61
	;; [unrolled: 1-line block ×4, first 2 shown]
	v_mad_u64_u32 v[62:63], null, s3, v82, v[46:47]
	v_mad_u64_u32 v[52:53], null, s3, v80, v[47:48]
	;; [unrolled: 1-line block ×3, first 2 shown]
	v_add_nc_u32_e32 v49, 0x384, v72
	v_mad_u64_u32 v[45:46], null, s3, v83, v[45:46]
	v_mov_b32_e32 v57, v48
	v_mov_b32_e32 v76, v62
	v_mad_u64_u32 v[46:47], null, s2, v49, 0
	v_lshlrev_b64 v[62:63], 4, v[64:65]
	v_add_nc_u32_e32 v50, 0x3e8, v72
	v_lshlrev_b64 v[56:57], 4, v[56:57]
	v_mov_b32_e32 v59, v52
	v_lshlrev_b64 v[64:65], 4, v[68:69]
	v_mov_b32_e32 v61, v53
	v_mad_u64_u32 v[47:48], null, s3, v49, v[47:48]
	v_add_co_u32 v62, vcc_lo, v73, v62
	v_mad_u64_u32 v[48:49], null, s2, v50, 0
	v_add_co_ci_u32_e32 v63, vcc_lo, v74, v63, vcc_lo
	v_lshlrev_b64 v[58:59], 4, v[58:59]
	v_add_co_u32 v56, vcc_lo, v73, v56
	v_add_co_ci_u32_e32 v57, vcc_lo, v74, v57, vcc_lo
	v_lshlrev_b64 v[60:61], 4, v[60:61]
	v_add_co_u32 v64, vcc_lo, v73, v64
	v_add_co_ci_u32_e32 v65, vcc_lo, v74, v65, vcc_lo
	v_mad_u64_u32 v[49:50], null, s3, v50, v[49:50]
	v_lshlrev_b64 v[66:67], 4, v[75:76]
	v_add_co_u32 v58, vcc_lo, v73, v58
	v_add_nc_u32_e32 v54, 0x4b0, v72
	v_mad_u64_u32 v[50:51], null, s2, v55, 0
	v_add_co_ci_u32_e32 v59, vcc_lo, v74, v59, vcc_lo
	v_add_co_u32 v60, vcc_lo, v73, v60
	v_add_co_ci_u32_e32 v61, vcc_lo, v74, v61, vcc_lo
	v_mad_u64_u32 v[52:53], null, s2, v54, 0
	v_add_co_u32 v66, vcc_lo, v73, v66
	v_add_co_ci_u32_e32 v67, vcc_lo, v74, v67, vcc_lo
	global_store_dwordx4 v[62:63], v[40:43], off
	global_store_dwordx4 v[56:57], v[32:35], off
	;; [unrolled: 1-line block ×6, first 2 shown]
	v_lshlrev_b64 v[9:10], 4, v[44:45]
	v_mov_b32_e32 v8, v51
	v_mad_u64_u32 v[11:12], null, s3, v55, v[8:9]
	v_mov_b32_e32 v8, v53
	v_add_co_u32 v9, vcc_lo, v73, v9
	v_lshlrev_b64 v[12:13], 4, v[46:47]
	v_add_co_ci_u32_e32 v10, vcc_lo, v74, v10, vcc_lo
	v_mad_u64_u32 v[14:15], null, s3, v54, v[8:9]
	v_lshlrev_b64 v[15:16], 4, v[48:49]
	v_mov_b32_e32 v51, v11
	v_add_co_u32 v11, vcc_lo, v73, v12
	v_add_co_ci_u32_e32 v12, vcc_lo, v74, v13, vcc_lo
	v_mov_b32_e32 v53, v14
	v_lshlrev_b64 v[17:18], 4, v[50:51]
	v_add_co_u32 v13, vcc_lo, v73, v15
	v_add_co_ci_u32_e32 v14, vcc_lo, v74, v16, vcc_lo
	v_lshlrev_b64 v[15:16], 4, v[52:53]
	v_add_co_u32 v17, vcc_lo, v73, v17
	v_add_co_ci_u32_e32 v18, vcc_lo, v74, v18, vcc_lo
	v_add_co_u32 v15, vcc_lo, v73, v15
	v_add_co_ci_u32_e32 v16, vcc_lo, v74, v16, vcc_lo
	global_store_dwordx4 v[9:10], v[0:3], off
	global_store_dwordx4 v[11:12], v[4:7], off
	;; [unrolled: 1-line block ×5, first 2 shown]
.LBB0_17:
	s_endpgm
	.section	.rodata,"a",@progbits
	.p2align	6, 0x0
	.amdhsa_kernel fft_rtc_fwd_len1300_factors_10_10_13_wgs_130_tpt_130_dp_op_CI_CI_sbrr_dirReg
		.amdhsa_group_segment_fixed_size 0
		.amdhsa_private_segment_fixed_size 0
		.amdhsa_kernarg_size 104
		.amdhsa_user_sgpr_count 6
		.amdhsa_user_sgpr_private_segment_buffer 1
		.amdhsa_user_sgpr_dispatch_ptr 0
		.amdhsa_user_sgpr_queue_ptr 0
		.amdhsa_user_sgpr_kernarg_segment_ptr 1
		.amdhsa_user_sgpr_dispatch_id 0
		.amdhsa_user_sgpr_flat_scratch_init 0
		.amdhsa_user_sgpr_private_segment_size 0
		.amdhsa_wavefront_size32 1
		.amdhsa_uses_dynamic_stack 0
		.amdhsa_system_sgpr_private_segment_wavefront_offset 0
		.amdhsa_system_sgpr_workgroup_id_x 1
		.amdhsa_system_sgpr_workgroup_id_y 0
		.amdhsa_system_sgpr_workgroup_id_z 0
		.amdhsa_system_sgpr_workgroup_info 0
		.amdhsa_system_vgpr_workitem_id 0
		.amdhsa_next_free_vgpr 133
		.amdhsa_next_free_sgpr 40
		.amdhsa_reserve_vcc 1
		.amdhsa_reserve_flat_scratch 0
		.amdhsa_float_round_mode_32 0
		.amdhsa_float_round_mode_16_64 0
		.amdhsa_float_denorm_mode_32 3
		.amdhsa_float_denorm_mode_16_64 3
		.amdhsa_dx10_clamp 1
		.amdhsa_ieee_mode 1
		.amdhsa_fp16_overflow 0
		.amdhsa_workgroup_processor_mode 1
		.amdhsa_memory_ordered 1
		.amdhsa_forward_progress 0
		.amdhsa_shared_vgpr_count 0
		.amdhsa_exception_fp_ieee_invalid_op 0
		.amdhsa_exception_fp_denorm_src 0
		.amdhsa_exception_fp_ieee_div_zero 0
		.amdhsa_exception_fp_ieee_overflow 0
		.amdhsa_exception_fp_ieee_underflow 0
		.amdhsa_exception_fp_ieee_inexact 0
		.amdhsa_exception_int_div_zero 0
	.end_amdhsa_kernel
	.text
.Lfunc_end0:
	.size	fft_rtc_fwd_len1300_factors_10_10_13_wgs_130_tpt_130_dp_op_CI_CI_sbrr_dirReg, .Lfunc_end0-fft_rtc_fwd_len1300_factors_10_10_13_wgs_130_tpt_130_dp_op_CI_CI_sbrr_dirReg
                                        ; -- End function
	.section	.AMDGPU.csdata,"",@progbits
; Kernel info:
; codeLenInByte = 10288
; NumSgprs: 42
; NumVgprs: 133
; ScratchSize: 0
; MemoryBound: 1
; FloatMode: 240
; IeeeMode: 1
; LDSByteSize: 0 bytes/workgroup (compile time only)
; SGPRBlocks: 5
; VGPRBlocks: 16
; NumSGPRsForWavesPerEU: 42
; NumVGPRsForWavesPerEU: 133
; Occupancy: 7
; WaveLimiterHint : 1
; COMPUTE_PGM_RSRC2:SCRATCH_EN: 0
; COMPUTE_PGM_RSRC2:USER_SGPR: 6
; COMPUTE_PGM_RSRC2:TRAP_HANDLER: 0
; COMPUTE_PGM_RSRC2:TGID_X_EN: 1
; COMPUTE_PGM_RSRC2:TGID_Y_EN: 0
; COMPUTE_PGM_RSRC2:TGID_Z_EN: 0
; COMPUTE_PGM_RSRC2:TIDIG_COMP_CNT: 0
	.text
	.p2alignl 6, 3214868480
	.fill 48, 4, 3214868480
	.type	__hip_cuid_aec5c9daa50c534b,@object ; @__hip_cuid_aec5c9daa50c534b
	.section	.bss,"aw",@nobits
	.globl	__hip_cuid_aec5c9daa50c534b
__hip_cuid_aec5c9daa50c534b:
	.byte	0                               ; 0x0
	.size	__hip_cuid_aec5c9daa50c534b, 1

	.ident	"AMD clang version 19.0.0git (https://github.com/RadeonOpenCompute/llvm-project roc-6.4.0 25133 c7fe45cf4b819c5991fe208aaa96edf142730f1d)"
	.section	".note.GNU-stack","",@progbits
	.addrsig
	.addrsig_sym __hip_cuid_aec5c9daa50c534b
	.amdgpu_metadata
---
amdhsa.kernels:
  - .args:
      - .actual_access:  read_only
        .address_space:  global
        .offset:         0
        .size:           8
        .value_kind:     global_buffer
      - .offset:         8
        .size:           8
        .value_kind:     by_value
      - .actual_access:  read_only
        .address_space:  global
        .offset:         16
        .size:           8
        .value_kind:     global_buffer
      - .actual_access:  read_only
        .address_space:  global
        .offset:         24
        .size:           8
        .value_kind:     global_buffer
      - .actual_access:  read_only
        .address_space:  global
        .offset:         32
        .size:           8
        .value_kind:     global_buffer
      - .offset:         40
        .size:           8
        .value_kind:     by_value
      - .actual_access:  read_only
        .address_space:  global
        .offset:         48
        .size:           8
        .value_kind:     global_buffer
      - .actual_access:  read_only
        .address_space:  global
        .offset:         56
        .size:           8
        .value_kind:     global_buffer
      - .offset:         64
        .size:           4
        .value_kind:     by_value
      - .actual_access:  read_only
        .address_space:  global
        .offset:         72
        .size:           8
        .value_kind:     global_buffer
      - .actual_access:  read_only
        .address_space:  global
        .offset:         80
        .size:           8
        .value_kind:     global_buffer
      - .actual_access:  read_only
        .address_space:  global
        .offset:         88
        .size:           8
        .value_kind:     global_buffer
      - .actual_access:  write_only
        .address_space:  global
        .offset:         96
        .size:           8
        .value_kind:     global_buffer
    .group_segment_fixed_size: 0
    .kernarg_segment_align: 8
    .kernarg_segment_size: 104
    .language:       OpenCL C
    .language_version:
      - 2
      - 0
    .max_flat_workgroup_size: 130
    .name:           fft_rtc_fwd_len1300_factors_10_10_13_wgs_130_tpt_130_dp_op_CI_CI_sbrr_dirReg
    .private_segment_fixed_size: 0
    .sgpr_count:     42
    .sgpr_spill_count: 0
    .symbol:         fft_rtc_fwd_len1300_factors_10_10_13_wgs_130_tpt_130_dp_op_CI_CI_sbrr_dirReg.kd
    .uniform_work_group_size: 1
    .uses_dynamic_stack: false
    .vgpr_count:     133
    .vgpr_spill_count: 0
    .wavefront_size: 32
    .workgroup_processor_mode: 1
amdhsa.target:   amdgcn-amd-amdhsa--gfx1030
amdhsa.version:
  - 1
  - 2
...

	.end_amdgpu_metadata
